;; amdgpu-corpus repo=ggml-org/llama.cpp kind=compiled arch=gfx906 opt=O3
	.amdgcn_target "amdgcn-amd-amdhsa--gfx906"
	.amdhsa_code_object_version 6
	.section	.text._Z9fwht_cudaILi64EEvPKfPflf,"axG",@progbits,_Z9fwht_cudaILi64EEvPKfPflf,comdat
	.protected	_Z9fwht_cudaILi64EEvPKfPflf ; -- Begin function _Z9fwht_cudaILi64EEvPKfPflf
	.globl	_Z9fwht_cudaILi64EEvPKfPflf
	.p2align	8
	.type	_Z9fwht_cudaILi64EEvPKfPflf,@function
_Z9fwht_cudaILi64EEvPKfPflf:            ; @_Z9fwht_cudaILi64EEvPKfPflf
; %bb.0:
	s_load_dword s2, s[4:5], 0x2c
	s_load_dwordx2 s[0:1], s[4:5], 0x10
	v_mov_b32_e32 v2, 0
	v_mov_b32_e32 v3, s6
	s_waitcnt lgkmcnt(0)
	s_lshr_b32 s2, s2, 16
	v_mad_u64_u32 v[1:2], s[2:3], s2, v3, v[1:2]
	v_cmp_gt_i64_e32 vcc, s[0:1], v[1:2]
	s_and_saveexec_b64 s[0:1], vcc
	s_cbranch_execz .LBB0_2
; %bb.1:
	s_load_dwordx4 s[0:3], s[4:5], 0x0
	s_load_dword s6, s[4:5], 0x18
	v_lshlrev_b64 v[1:2], 8, v[1:2]
	v_lshlrev_b32_e32 v6, 2, v0
	v_and_b32_e32 v7, 2, v0
	s_waitcnt lgkmcnt(0)
	v_mov_b32_e32 v3, s1
	v_add_co_u32_e32 v4, vcc, s0, v1
	v_addc_co_u32_e32 v5, vcc, v3, v2, vcc
	v_add_co_u32_e32 v3, vcc, v4, v6
	v_addc_co_u32_e32 v4, vcc, 0, v5, vcc
	global_load_dword v3, v[3:4], off
	v_mbcnt_lo_u32_b32 v4, -1, 0
	v_mbcnt_hi_u32_b32 v4, -1, v4
	v_and_b32_e32 v11, 64, v4
	v_xor_b32_e32 v12, 1, v4
	v_add_u32_e32 v11, 64, v11
	v_cmp_lt_i32_e32 vcc, v12, v11
	v_cndmask_b32_e32 v12, v4, v12, vcc
	v_lshlrev_b32_e32 v12, 2, v12
	v_xor_b32_e32 v13, 2, v4
	v_xor_b32_e32 v14, 4, v4
	v_cmp_lt_i32_e32 vcc, v13, v11
	v_and_b32_e32 v5, 1, v0
	v_cndmask_b32_e32 v13, v4, v13, vcc
	v_cmp_lt_i32_e32 vcc, v14, v11
	v_cndmask_b32_e32 v14, v4, v14, vcc
	v_cmp_eq_u32_e32 vcc, 0, v5
	v_lshlrev_b32_e32 v13, 2, v13
	v_xor_b32_e32 v15, 8, v4
	v_xor_b32_e32 v16, 16, v4
	v_and_b32_e32 v8, 4, v0
	v_xor_b32_e32 v17, 32, v4
	v_and_b32_e32 v9, 8, v0
	v_and_b32_e32 v10, 16, v0
	;; [unrolled: 1-line block ×3, first 2 shown]
	s_waitcnt vmcnt(0)
	v_mul_f32_e32 v3, s6, v3
	ds_bpermute_b32 v12, v12, v3
	v_cndmask_b32_e64 v3, -v3, v3, vcc
	v_cmp_lt_i32_e32 vcc, v15, v11
	s_waitcnt lgkmcnt(0)
	v_add_f32_e32 v3, v3, v12
	ds_bpermute_b32 v5, v13, v3
	v_cndmask_b32_e32 v12, v4, v15, vcc
	v_cmp_eq_u32_e32 vcc, 0, v7
	v_cndmask_b32_e64 v3, -v3, v3, vcc
	v_lshlrev_b32_e32 v13, 2, v14
	s_waitcnt lgkmcnt(0)
	v_add_f32_e32 v3, v3, v5
	ds_bpermute_b32 v5, v13, v3
	v_cmp_lt_i32_e32 vcc, v16, v11
	v_cndmask_b32_e32 v7, v4, v16, vcc
	v_cmp_eq_u32_e32 vcc, 0, v8
	v_cndmask_b32_e64 v3, -v3, v3, vcc
	v_lshlrev_b32_e32 v12, 2, v12
	s_waitcnt lgkmcnt(0)
	v_add_f32_e32 v3, v3, v5
	ds_bpermute_b32 v5, v12, v3
	v_cmp_lt_i32_e32 vcc, v17, v11
	v_cndmask_b32_e32 v4, v4, v17, vcc
	v_cmp_eq_u32_e32 vcc, 0, v9
	v_cndmask_b32_e64 v3, -v3, v3, vcc
	v_lshlrev_b32_e32 v7, 2, v7
	s_waitcnt lgkmcnt(0)
	v_add_f32_e32 v3, v3, v5
	ds_bpermute_b32 v5, v7, v3
	v_cmp_eq_u32_e32 vcc, 0, v10
	v_cndmask_b32_e64 v3, -v3, v3, vcc
	v_lshlrev_b32_e32 v4, 2, v4
	v_mov_b32_e32 v7, s3
	s_waitcnt lgkmcnt(0)
	v_add_f32_e32 v3, v3, v5
	ds_bpermute_b32 v4, v4, v3
	v_add_co_u32_e32 v1, vcc, s2, v1
	v_addc_co_u32_e32 v2, vcc, v7, v2, vcc
	v_cmp_eq_u32_e32 vcc, 0, v0
	v_cndmask_b32_e64 v0, -v3, v3, vcc
	s_waitcnt lgkmcnt(0)
	v_add_f32_e32 v3, v0, v4
	v_add_co_u32_e32 v0, vcc, v1, v6
	v_addc_co_u32_e32 v1, vcc, 0, v2, vcc
	global_store_dword v[0:1], v3, off
.LBB0_2:
	s_endpgm
	.section	.rodata,"a",@progbits
	.p2align	6, 0x0
	.amdhsa_kernel _Z9fwht_cudaILi64EEvPKfPflf
		.amdhsa_group_segment_fixed_size 0
		.amdhsa_private_segment_fixed_size 0
		.amdhsa_kernarg_size 288
		.amdhsa_user_sgpr_count 6
		.amdhsa_user_sgpr_private_segment_buffer 1
		.amdhsa_user_sgpr_dispatch_ptr 0
		.amdhsa_user_sgpr_queue_ptr 0
		.amdhsa_user_sgpr_kernarg_segment_ptr 1
		.amdhsa_user_sgpr_dispatch_id 0
		.amdhsa_user_sgpr_flat_scratch_init 0
		.amdhsa_user_sgpr_private_segment_size 0
		.amdhsa_uses_dynamic_stack 0
		.amdhsa_system_sgpr_private_segment_wavefront_offset 0
		.amdhsa_system_sgpr_workgroup_id_x 1
		.amdhsa_system_sgpr_workgroup_id_y 0
		.amdhsa_system_sgpr_workgroup_id_z 0
		.amdhsa_system_sgpr_workgroup_info 0
		.amdhsa_system_vgpr_workitem_id 1
		.amdhsa_next_free_vgpr 18
		.amdhsa_next_free_sgpr 7
		.amdhsa_reserve_vcc 1
		.amdhsa_reserve_flat_scratch 0
		.amdhsa_float_round_mode_32 0
		.amdhsa_float_round_mode_16_64 0
		.amdhsa_float_denorm_mode_32 3
		.amdhsa_float_denorm_mode_16_64 3
		.amdhsa_dx10_clamp 1
		.amdhsa_ieee_mode 1
		.amdhsa_fp16_overflow 0
		.amdhsa_exception_fp_ieee_invalid_op 0
		.amdhsa_exception_fp_denorm_src 0
		.amdhsa_exception_fp_ieee_div_zero 0
		.amdhsa_exception_fp_ieee_overflow 0
		.amdhsa_exception_fp_ieee_underflow 0
		.amdhsa_exception_fp_ieee_inexact 0
		.amdhsa_exception_int_div_zero 0
	.end_amdhsa_kernel
	.section	.text._Z9fwht_cudaILi64EEvPKfPflf,"axG",@progbits,_Z9fwht_cudaILi64EEvPKfPflf,comdat
.Lfunc_end0:
	.size	_Z9fwht_cudaILi64EEvPKfPflf, .Lfunc_end0-_Z9fwht_cudaILi64EEvPKfPflf
                                        ; -- End function
	.set _Z9fwht_cudaILi64EEvPKfPflf.num_vgpr, 18
	.set _Z9fwht_cudaILi64EEvPKfPflf.num_agpr, 0
	.set _Z9fwht_cudaILi64EEvPKfPflf.numbered_sgpr, 7
	.set _Z9fwht_cudaILi64EEvPKfPflf.num_named_barrier, 0
	.set _Z9fwht_cudaILi64EEvPKfPflf.private_seg_size, 0
	.set _Z9fwht_cudaILi64EEvPKfPflf.uses_vcc, 1
	.set _Z9fwht_cudaILi64EEvPKfPflf.uses_flat_scratch, 0
	.set _Z9fwht_cudaILi64EEvPKfPflf.has_dyn_sized_stack, 0
	.set _Z9fwht_cudaILi64EEvPKfPflf.has_recursion, 0
	.set _Z9fwht_cudaILi64EEvPKfPflf.has_indirect_call, 0
	.section	.AMDGPU.csdata,"",@progbits
; Kernel info:
; codeLenInByte = 464
; TotalNumSgprs: 11
; NumVgprs: 18
; ScratchSize: 0
; MemoryBound: 0
; FloatMode: 240
; IeeeMode: 1
; LDSByteSize: 0 bytes/workgroup (compile time only)
; SGPRBlocks: 1
; VGPRBlocks: 4
; NumSGPRsForWavesPerEU: 11
; NumVGPRsForWavesPerEU: 18
; Occupancy: 10
; WaveLimiterHint : 0
; COMPUTE_PGM_RSRC2:SCRATCH_EN: 0
; COMPUTE_PGM_RSRC2:USER_SGPR: 6
; COMPUTE_PGM_RSRC2:TRAP_HANDLER: 0
; COMPUTE_PGM_RSRC2:TGID_X_EN: 1
; COMPUTE_PGM_RSRC2:TGID_Y_EN: 0
; COMPUTE_PGM_RSRC2:TGID_Z_EN: 0
; COMPUTE_PGM_RSRC2:TIDIG_COMP_CNT: 1
	.section	.text._Z9fwht_cudaILi128EEvPKfPflf,"axG",@progbits,_Z9fwht_cudaILi128EEvPKfPflf,comdat
	.protected	_Z9fwht_cudaILi128EEvPKfPflf ; -- Begin function _Z9fwht_cudaILi128EEvPKfPflf
	.globl	_Z9fwht_cudaILi128EEvPKfPflf
	.p2align	8
	.type	_Z9fwht_cudaILi128EEvPKfPflf,@function
_Z9fwht_cudaILi128EEvPKfPflf:           ; @_Z9fwht_cudaILi128EEvPKfPflf
; %bb.0:
	s_load_dword s2, s[4:5], 0x2c
	s_load_dwordx2 s[0:1], s[4:5], 0x10
	v_mov_b32_e32 v2, 0
	v_mov_b32_e32 v3, s6
	s_waitcnt lgkmcnt(0)
	s_lshr_b32 s2, s2, 16
	v_mad_u64_u32 v[1:2], s[2:3], s2, v3, v[1:2]
	v_cmp_gt_i64_e32 vcc, s[0:1], v[1:2]
	s_and_saveexec_b64 s[0:1], vcc
	s_cbranch_execz .LBB1_2
; %bb.1:
	s_load_dwordx4 s[0:3], s[4:5], 0x0
	s_load_dword s6, s[4:5], 0x18
	v_lshlrev_b64 v[1:2], 9, v[1:2]
	v_lshlrev_b32_e32 v6, 2, v0
	v_and_b32_e32 v8, 2, v0
	s_waitcnt lgkmcnt(0)
	v_mov_b32_e32 v3, s1
	v_add_co_u32_e32 v4, vcc, s0, v1
	v_addc_co_u32_e32 v5, vcc, v3, v2, vcc
	v_add_co_u32_e32 v3, vcc, v4, v6
	v_addc_co_u32_e32 v4, vcc, 0, v5, vcc
	global_load_dword v5, v[3:4], off
	global_load_dword v7, v[3:4], off offset:256
	v_mbcnt_lo_u32_b32 v3, -1, 0
	v_and_b32_e32 v4, 1, v0
	v_and_b32_e32 v9, 4, v0
	v_and_b32_e32 v10, 8, v0
	v_and_b32_e32 v11, 16, v0
	v_and_b32_e32 v12, 32, v0
	v_mbcnt_hi_u32_b32 v0, -1, v3
	v_and_b32_e32 v3, 64, v0
	v_xor_b32_e32 v13, 1, v0
	v_add_u32_e32 v3, 64, v3
	v_xor_b32_e32 v14, 2, v0
	v_cmp_lt_i32_e32 vcc, v13, v3
	v_xor_b32_e32 v15, 4, v0
	v_cndmask_b32_e32 v13, v0, v13, vcc
	v_cmp_lt_i32_e32 vcc, v14, v3
	v_xor_b32_e32 v16, 8, v0
	v_cndmask_b32_e32 v14, v0, v14, vcc
	;; [unrolled: 3-line block ×4, first 2 shown]
	v_cmp_lt_i32_e32 vcc, v17, v3
	v_cndmask_b32_e32 v17, v0, v17, vcc
	v_cmp_lt_i32_e32 vcc, v18, v3
	v_cndmask_b32_e32 v0, v0, v18, vcc
	v_lshlrev_b32_e32 v3, 2, v13
	v_lshlrev_b32_e32 v13, 2, v14
	v_lshlrev_b32_e32 v14, 2, v15
	v_lshlrev_b32_e32 v15, 2, v16
	v_lshlrev_b32_e32 v16, 2, v17
	v_lshlrev_b32_e32 v17, 2, v0
	v_mov_b32_e32 v0, s3
	v_add_co_u32_e32 v1, vcc, s2, v1
	v_addc_co_u32_e32 v2, vcc, v0, v2, vcc
	v_add_co_u32_e32 v0, vcc, v1, v6
	v_addc_co_u32_e32 v1, vcc, 0, v2, vcc
	v_cmp_eq_u32_e32 vcc, 0, v4
	s_waitcnt vmcnt(1)
	v_mul_f32_e32 v2, s6, v5
	s_waitcnt vmcnt(0)
	v_mul_f32_e32 v5, s6, v7
	ds_bpermute_b32 v6, v3, v2
	ds_bpermute_b32 v3, v3, v5
	v_cndmask_b32_e64 v2, -v2, v2, vcc
	v_cndmask_b32_e64 v4, -v5, v5, vcc
	v_cmp_eq_u32_e32 vcc, 0, v8
	s_waitcnt lgkmcnt(1)
	v_add_f32_e32 v2, v2, v6
	s_waitcnt lgkmcnt(0)
	v_add_f32_e32 v3, v4, v3
	ds_bpermute_b32 v4, v13, v2
	ds_bpermute_b32 v5, v13, v3
	v_cndmask_b32_e64 v2, -v2, v2, vcc
	v_cndmask_b32_e64 v3, -v3, v3, vcc
	v_cmp_eq_u32_e32 vcc, 0, v9
	s_waitcnt lgkmcnt(1)
	v_add_f32_e32 v2, v2, v4
	s_waitcnt lgkmcnt(0)
	v_add_f32_e32 v3, v3, v5
	;; [unrolled: 9-line block ×5, first 2 shown]
	ds_bpermute_b32 v4, v17, v2
	ds_bpermute_b32 v5, v17, v3
	v_cndmask_b32_e64 v2, -v2, v2, vcc
	v_cndmask_b32_e64 v3, -v3, v3, vcc
	s_waitcnt lgkmcnt(1)
	v_add_f32_e32 v2, v2, v4
	s_waitcnt lgkmcnt(0)
	v_add_f32_e32 v3, v3, v5
	v_add_f32_e32 v4, v2, v3
	v_sub_f32_e32 v2, v2, v3
	global_store_dword v[0:1], v4, off
	global_store_dword v[0:1], v2, off offset:256
.LBB1_2:
	s_endpgm
	.section	.rodata,"a",@progbits
	.p2align	6, 0x0
	.amdhsa_kernel _Z9fwht_cudaILi128EEvPKfPflf
		.amdhsa_group_segment_fixed_size 0
		.amdhsa_private_segment_fixed_size 0
		.amdhsa_kernarg_size 288
		.amdhsa_user_sgpr_count 6
		.amdhsa_user_sgpr_private_segment_buffer 1
		.amdhsa_user_sgpr_dispatch_ptr 0
		.amdhsa_user_sgpr_queue_ptr 0
		.amdhsa_user_sgpr_kernarg_segment_ptr 1
		.amdhsa_user_sgpr_dispatch_id 0
		.amdhsa_user_sgpr_flat_scratch_init 0
		.amdhsa_user_sgpr_private_segment_size 0
		.amdhsa_uses_dynamic_stack 0
		.amdhsa_system_sgpr_private_segment_wavefront_offset 0
		.amdhsa_system_sgpr_workgroup_id_x 1
		.amdhsa_system_sgpr_workgroup_id_y 0
		.amdhsa_system_sgpr_workgroup_id_z 0
		.amdhsa_system_sgpr_workgroup_info 0
		.amdhsa_system_vgpr_workitem_id 1
		.amdhsa_next_free_vgpr 19
		.amdhsa_next_free_sgpr 7
		.amdhsa_reserve_vcc 1
		.amdhsa_reserve_flat_scratch 0
		.amdhsa_float_round_mode_32 0
		.amdhsa_float_round_mode_16_64 0
		.amdhsa_float_denorm_mode_32 3
		.amdhsa_float_denorm_mode_16_64 3
		.amdhsa_dx10_clamp 1
		.amdhsa_ieee_mode 1
		.amdhsa_fp16_overflow 0
		.amdhsa_exception_fp_ieee_invalid_op 0
		.amdhsa_exception_fp_denorm_src 0
		.amdhsa_exception_fp_ieee_div_zero 0
		.amdhsa_exception_fp_ieee_overflow 0
		.amdhsa_exception_fp_ieee_underflow 0
		.amdhsa_exception_fp_ieee_inexact 0
		.amdhsa_exception_int_div_zero 0
	.end_amdhsa_kernel
	.section	.text._Z9fwht_cudaILi128EEvPKfPflf,"axG",@progbits,_Z9fwht_cudaILi128EEvPKfPflf,comdat
.Lfunc_end1:
	.size	_Z9fwht_cudaILi128EEvPKfPflf, .Lfunc_end1-_Z9fwht_cudaILi128EEvPKfPflf
                                        ; -- End function
	.set _Z9fwht_cudaILi128EEvPKfPflf.num_vgpr, 19
	.set _Z9fwht_cudaILi128EEvPKfPflf.num_agpr, 0
	.set _Z9fwht_cudaILi128EEvPKfPflf.numbered_sgpr, 7
	.set _Z9fwht_cudaILi128EEvPKfPflf.num_named_barrier, 0
	.set _Z9fwht_cudaILi128EEvPKfPflf.private_seg_size, 0
	.set _Z9fwht_cudaILi128EEvPKfPflf.uses_vcc, 1
	.set _Z9fwht_cudaILi128EEvPKfPflf.uses_flat_scratch, 0
	.set _Z9fwht_cudaILi128EEvPKfPflf.has_dyn_sized_stack, 0
	.set _Z9fwht_cudaILi128EEvPKfPflf.has_recursion, 0
	.set _Z9fwht_cudaILi128EEvPKfPflf.has_indirect_call, 0
	.section	.AMDGPU.csdata,"",@progbits
; Kernel info:
; codeLenInByte = 640
; TotalNumSgprs: 11
; NumVgprs: 19
; ScratchSize: 0
; MemoryBound: 0
; FloatMode: 240
; IeeeMode: 1
; LDSByteSize: 0 bytes/workgroup (compile time only)
; SGPRBlocks: 1
; VGPRBlocks: 4
; NumSGPRsForWavesPerEU: 11
; NumVGPRsForWavesPerEU: 19
; Occupancy: 10
; WaveLimiterHint : 1
; COMPUTE_PGM_RSRC2:SCRATCH_EN: 0
; COMPUTE_PGM_RSRC2:USER_SGPR: 6
; COMPUTE_PGM_RSRC2:TRAP_HANDLER: 0
; COMPUTE_PGM_RSRC2:TGID_X_EN: 1
; COMPUTE_PGM_RSRC2:TGID_Y_EN: 0
; COMPUTE_PGM_RSRC2:TGID_Z_EN: 0
; COMPUTE_PGM_RSRC2:TIDIG_COMP_CNT: 1
	.section	.text._Z9fwht_cudaILi256EEvPKfPflf,"axG",@progbits,_Z9fwht_cudaILi256EEvPKfPflf,comdat
	.protected	_Z9fwht_cudaILi256EEvPKfPflf ; -- Begin function _Z9fwht_cudaILi256EEvPKfPflf
	.globl	_Z9fwht_cudaILi256EEvPKfPflf
	.p2align	8
	.type	_Z9fwht_cudaILi256EEvPKfPflf,@function
_Z9fwht_cudaILi256EEvPKfPflf:           ; @_Z9fwht_cudaILi256EEvPKfPflf
; %bb.0:
	s_load_dword s2, s[4:5], 0x2c
	s_load_dwordx2 s[0:1], s[4:5], 0x10
	v_mov_b32_e32 v2, 0
	v_mov_b32_e32 v3, s6
	s_waitcnt lgkmcnt(0)
	s_lshr_b32 s2, s2, 16
	v_mad_u64_u32 v[1:2], s[2:3], s2, v3, v[1:2]
	v_cmp_gt_i64_e32 vcc, s[0:1], v[1:2]
	s_and_saveexec_b64 s[0:1], vcc
	s_cbranch_execz .LBB2_2
; %bb.1:
	s_load_dwordx4 s[8:11], s[4:5], 0x0
	s_load_dword s12, s[4:5], 0x18
	v_lshlrev_b64 v[1:2], 10, v[1:2]
	v_lshlrev_b32_e32 v6, 2, v0
	v_and_b32_e32 v10, 2, v0
	s_waitcnt lgkmcnt(0)
	v_mov_b32_e32 v3, s9
	v_add_co_u32_e32 v4, vcc, s8, v1
	v_addc_co_u32_e32 v5, vcc, v3, v2, vcc
	v_add_co_u32_e32 v3, vcc, v4, v6
	v_addc_co_u32_e32 v4, vcc, 0, v5, vcc
	global_load_dword v5, v[3:4], off
	global_load_dword v7, v[3:4], off offset:256
	global_load_dword v8, v[3:4], off offset:512
	;; [unrolled: 1-line block ×3, first 2 shown]
	v_mbcnt_lo_u32_b32 v3, -1, 0
	v_mbcnt_hi_u32_b32 v3, -1, v3
	v_and_b32_e32 v13, 64, v3
	v_xor_b32_e32 v14, 1, v3
	v_add_u32_e32 v13, 64, v13
	v_cmp_lt_i32_e32 vcc, v14, v13
	v_xor_b32_e32 v15, 2, v3
	v_xor_b32_e32 v16, 4, v3
	;; [unrolled: 1-line block ×5, first 2 shown]
	v_cndmask_b32_e32 v14, v3, v14, vcc
	v_cmp_lt_i32_e64 s[0:1], v15, v13
	v_cmp_lt_i32_e64 s[2:3], v16, v13
	;; [unrolled: 1-line block ×5, first 2 shown]
	v_lshlrev_b32_e32 v14, 2, v14
	v_cndmask_b32_e64 v15, v3, v15, s[0:1]
	v_cndmask_b32_e64 v16, v3, v16, s[2:3]
	;; [unrolled: 1-line block ×5, first 2 shown]
	v_and_b32_e32 v4, 1, v0
	v_cmp_eq_u32_e32 vcc, 0, v4
	v_lshlrev_b32_e32 v15, 2, v15
	v_lshlrev_b32_e32 v16, 2, v16
	v_and_b32_e32 v11, 4, v0
	v_lshlrev_b32_e32 v17, 2, v17
	v_and_b32_e32 v12, 8, v0
	;; [unrolled: 2-line block ×4, first 2 shown]
	s_waitcnt vmcnt(3)
	v_mul_f32_e32 v5, s12, v5
	ds_bpermute_b32 v19, v14, v5
	s_waitcnt vmcnt(2)
	v_mul_f32_e32 v7, s12, v7
	s_waitcnt vmcnt(1)
	v_mul_f32_e32 v8, s12, v8
	;; [unrolled: 2-line block ×3, first 2 shown]
	v_cndmask_b32_e64 v4, -v5, v5, vcc
	ds_bpermute_b32 v5, v14, v7
	s_waitcnt lgkmcnt(1)
	v_add_f32_e32 v4, v4, v19
	ds_bpermute_b32 v19, v14, v8
	ds_bpermute_b32 v14, v14, v9
	v_cndmask_b32_e64 v7, -v7, v7, vcc
	v_cndmask_b32_e64 v8, -v8, v8, vcc
	;; [unrolled: 1-line block ×3, first 2 shown]
	s_waitcnt lgkmcnt(2)
	v_add_f32_e32 v5, v7, v5
	s_waitcnt lgkmcnt(1)
	v_add_f32_e32 v7, v8, v19
	;; [unrolled: 2-line block ×3, first 2 shown]
	ds_bpermute_b32 v9, v15, v4
	v_cmp_eq_u32_e32 vcc, 0, v10
	v_cndmask_b32_e64 v4, -v4, v4, vcc
	ds_bpermute_b32 v10, v15, v5
	ds_bpermute_b32 v14, v15, v7
	ds_bpermute_b32 v15, v15, v8
	s_waitcnt lgkmcnt(3)
	v_add_f32_e32 v4, v4, v9
	ds_bpermute_b32 v9, v16, v4
	v_cndmask_b32_e64 v5, -v5, v5, vcc
	v_cndmask_b32_e64 v7, -v7, v7, vcc
	v_cndmask_b32_e64 v8, -v8, v8, vcc
	s_waitcnt lgkmcnt(3)
	v_add_f32_e32 v5, v5, v10
	v_cmp_eq_u32_e32 vcc, 0, v11
	s_waitcnt lgkmcnt(2)
	v_add_f32_e32 v7, v7, v14
	s_waitcnt lgkmcnt(1)
	v_add_f32_e32 v8, v8, v15
	v_cndmask_b32_e64 v4, -v4, v4, vcc
	ds_bpermute_b32 v10, v16, v5
	ds_bpermute_b32 v11, v16, v7
	ds_bpermute_b32 v14, v16, v8
	s_waitcnt lgkmcnt(3)
	v_add_f32_e32 v4, v4, v9
	ds_bpermute_b32 v9, v17, v4
	v_cndmask_b32_e64 v5, -v5, v5, vcc
	v_cndmask_b32_e64 v7, -v7, v7, vcc
	v_cndmask_b32_e64 v8, -v8, v8, vcc
	s_waitcnt lgkmcnt(3)
	v_add_f32_e32 v5, v5, v10
	v_cmp_eq_u32_e32 vcc, 0, v12
	s_waitcnt lgkmcnt(2)
	v_add_f32_e32 v7, v7, v11
	s_waitcnt lgkmcnt(1)
	v_add_f32_e32 v8, v8, v14
	;; [unrolled: 17-line block ×4, first 2 shown]
	v_cndmask_b32_e64 v0, -v4, v4, vcc
	ds_bpermute_b32 v4, v3, v5
	s_waitcnt lgkmcnt(1)
	v_add_f32_e32 v0, v0, v9
	ds_bpermute_b32 v9, v3, v7
	ds_bpermute_b32 v3, v3, v8
	v_cndmask_b32_e64 v5, -v5, v5, vcc
	s_waitcnt lgkmcnt(2)
	v_add_f32_e32 v4, v5, v4
	v_cndmask_b32_e64 v5, -v7, v7, vcc
	v_cndmask_b32_e64 v7, -v8, v8, vcc
	s_waitcnt lgkmcnt(1)
	v_add_f32_e32 v5, v5, v9
	s_waitcnt lgkmcnt(0)
	v_add_f32_e32 v3, v7, v3
	v_add_f32_e32 v7, v0, v4
	v_sub_f32_e32 v0, v0, v4
	v_add_f32_e32 v4, v5, v3
	v_sub_f32_e32 v3, v5, v3
	v_sub_f32_e32 v5, v7, v4
	v_add_f32_e32 v4, v7, v4
	v_add_f32_e32 v7, v0, v3
	v_sub_f32_e32 v3, v0, v3
	v_mov_b32_e32 v0, s11
	v_add_co_u32_e32 v1, vcc, s10, v1
	v_addc_co_u32_e32 v2, vcc, v0, v2, vcc
	v_add_co_u32_e32 v0, vcc, v1, v6
	v_addc_co_u32_e32 v1, vcc, 0, v2, vcc
	global_store_dword v[0:1], v4, off
	global_store_dword v[0:1], v7, off offset:256
	global_store_dword v[0:1], v5, off offset:512
	;; [unrolled: 1-line block ×3, first 2 shown]
.LBB2_2:
	s_endpgm
	.section	.rodata,"a",@progbits
	.p2align	6, 0x0
	.amdhsa_kernel _Z9fwht_cudaILi256EEvPKfPflf
		.amdhsa_group_segment_fixed_size 0
		.amdhsa_private_segment_fixed_size 0
		.amdhsa_kernarg_size 288
		.amdhsa_user_sgpr_count 6
		.amdhsa_user_sgpr_private_segment_buffer 1
		.amdhsa_user_sgpr_dispatch_ptr 0
		.amdhsa_user_sgpr_queue_ptr 0
		.amdhsa_user_sgpr_kernarg_segment_ptr 1
		.amdhsa_user_sgpr_dispatch_id 0
		.amdhsa_user_sgpr_flat_scratch_init 0
		.amdhsa_user_sgpr_private_segment_size 0
		.amdhsa_uses_dynamic_stack 0
		.amdhsa_system_sgpr_private_segment_wavefront_offset 0
		.amdhsa_system_sgpr_workgroup_id_x 1
		.amdhsa_system_sgpr_workgroup_id_y 0
		.amdhsa_system_sgpr_workgroup_id_z 0
		.amdhsa_system_sgpr_workgroup_info 0
		.amdhsa_system_vgpr_workitem_id 1
		.amdhsa_next_free_vgpr 20
		.amdhsa_next_free_sgpr 13
		.amdhsa_reserve_vcc 1
		.amdhsa_reserve_flat_scratch 0
		.amdhsa_float_round_mode_32 0
		.amdhsa_float_round_mode_16_64 0
		.amdhsa_float_denorm_mode_32 3
		.amdhsa_float_denorm_mode_16_64 3
		.amdhsa_dx10_clamp 1
		.amdhsa_ieee_mode 1
		.amdhsa_fp16_overflow 0
		.amdhsa_exception_fp_ieee_invalid_op 0
		.amdhsa_exception_fp_denorm_src 0
		.amdhsa_exception_fp_ieee_div_zero 0
		.amdhsa_exception_fp_ieee_overflow 0
		.amdhsa_exception_fp_ieee_underflow 0
		.amdhsa_exception_fp_ieee_inexact 0
		.amdhsa_exception_int_div_zero 0
	.end_amdhsa_kernel
	.section	.text._Z9fwht_cudaILi256EEvPKfPflf,"axG",@progbits,_Z9fwht_cudaILi256EEvPKfPflf,comdat
.Lfunc_end2:
	.size	_Z9fwht_cudaILi256EEvPKfPflf, .Lfunc_end2-_Z9fwht_cudaILi256EEvPKfPflf
                                        ; -- End function
	.set _Z9fwht_cudaILi256EEvPKfPflf.num_vgpr, 20
	.set _Z9fwht_cudaILi256EEvPKfPflf.num_agpr, 0
	.set _Z9fwht_cudaILi256EEvPKfPflf.numbered_sgpr, 13
	.set _Z9fwht_cudaILi256EEvPKfPflf.num_named_barrier, 0
	.set _Z9fwht_cudaILi256EEvPKfPflf.private_seg_size, 0
	.set _Z9fwht_cudaILi256EEvPKfPflf.uses_vcc, 1
	.set _Z9fwht_cudaILi256EEvPKfPflf.uses_flat_scratch, 0
	.set _Z9fwht_cudaILi256EEvPKfPflf.has_dyn_sized_stack, 0
	.set _Z9fwht_cudaILi256EEvPKfPflf.has_recursion, 0
	.set _Z9fwht_cudaILi256EEvPKfPflf.has_indirect_call, 0
	.section	.AMDGPU.csdata,"",@progbits
; Kernel info:
; codeLenInByte = 1040
; TotalNumSgprs: 17
; NumVgprs: 20
; ScratchSize: 0
; MemoryBound: 0
; FloatMode: 240
; IeeeMode: 1
; LDSByteSize: 0 bytes/workgroup (compile time only)
; SGPRBlocks: 2
; VGPRBlocks: 4
; NumSGPRsForWavesPerEU: 17
; NumVGPRsForWavesPerEU: 20
; Occupancy: 10
; WaveLimiterHint : 1
; COMPUTE_PGM_RSRC2:SCRATCH_EN: 0
; COMPUTE_PGM_RSRC2:USER_SGPR: 6
; COMPUTE_PGM_RSRC2:TRAP_HANDLER: 0
; COMPUTE_PGM_RSRC2:TGID_X_EN: 1
; COMPUTE_PGM_RSRC2:TGID_Y_EN: 0
; COMPUTE_PGM_RSRC2:TGID_Z_EN: 0
; COMPUTE_PGM_RSRC2:TIDIG_COMP_CNT: 1
	.section	.text._Z9fwht_cudaILi512EEvPKfPflf,"axG",@progbits,_Z9fwht_cudaILi512EEvPKfPflf,comdat
	.protected	_Z9fwht_cudaILi512EEvPKfPflf ; -- Begin function _Z9fwht_cudaILi512EEvPKfPflf
	.globl	_Z9fwht_cudaILi512EEvPKfPflf
	.p2align	8
	.type	_Z9fwht_cudaILi512EEvPKfPflf,@function
_Z9fwht_cudaILi512EEvPKfPflf:           ; @_Z9fwht_cudaILi512EEvPKfPflf
; %bb.0:
	s_load_dword s2, s[4:5], 0x2c
	s_load_dwordx2 s[0:1], s[4:5], 0x10
	v_mov_b32_e32 v2, 0
	v_mov_b32_e32 v3, s6
	s_waitcnt lgkmcnt(0)
	s_lshr_b32 s2, s2, 16
	v_mad_u64_u32 v[1:2], s[2:3], s2, v3, v[1:2]
	v_cmp_gt_i64_e32 vcc, s[0:1], v[1:2]
	s_and_saveexec_b64 s[0:1], vcc
	s_cbranch_execz .LBB3_2
; %bb.1:
	s_load_dwordx4 s[0:3], s[4:5], 0x0
	s_load_dword s6, s[4:5], 0x18
	v_lshlrev_b64 v[1:2], 11, v[1:2]
	v_lshlrev_b32_e32 v6, 2, v0
	v_and_b32_e32 v14, 2, v0
	s_waitcnt lgkmcnt(0)
	v_mov_b32_e32 v3, s1
	v_add_co_u32_e32 v4, vcc, s0, v1
	v_addc_co_u32_e32 v5, vcc, v3, v2, vcc
	v_add_co_u32_e32 v3, vcc, v4, v6
	v_addc_co_u32_e32 v4, vcc, 0, v5, vcc
	global_load_dword v5, v[3:4], off
	global_load_dword v7, v[3:4], off offset:256
	global_load_dword v8, v[3:4], off offset:512
	;; [unrolled: 1-line block ×7, first 2 shown]
	v_mbcnt_lo_u32_b32 v3, -1, 0
	v_mbcnt_hi_u32_b32 v3, -1, v3
	v_and_b32_e32 v16, 64, v3
	v_xor_b32_e32 v17, 1, v3
	v_add_u32_e32 v16, 64, v16
	v_cmp_lt_i32_e32 vcc, v17, v16
	v_cndmask_b32_e32 v17, v3, v17, vcc
	v_lshlrev_b32_e32 v17, 2, v17
	v_and_b32_e32 v4, 1, v0
	v_cmp_eq_u32_e32 vcc, 0, v4
	v_xor_b32_e32 v18, 2, v3
	v_cmp_lt_i32_e64 s[0:1], v18, v16
	v_cndmask_b32_e64 v18, v3, v18, s[0:1]
	v_lshlrev_b32_e32 v18, 2, v18
	v_and_b32_e32 v15, 4, v0
	s_waitcnt vmcnt(7)
	v_mul_f32_e32 v5, s6, v5
	ds_bpermute_b32 v19, v17, v5
	s_waitcnt vmcnt(5)
	v_mul_f32_e32 v8, s6, v8
	v_cndmask_b32_e64 v5, -v5, v5, vcc
	s_waitcnt vmcnt(4)
	v_mul_f32_e32 v9, s6, v9
	s_waitcnt vmcnt(3)
	v_mul_f32_e32 v10, s6, v10
	s_waitcnt lgkmcnt(0)
	v_add_f32_e32 v5, v5, v19
	ds_bpermute_b32 v19, v17, v8
	v_cndmask_b32_e64 v8, -v8, v8, vcc
	s_waitcnt vmcnt(2)
	v_mul_f32_e32 v11, s6, v11
	v_mul_f32_e32 v7, s6, v7
	ds_bpermute_b32 v4, v17, v7
	s_waitcnt lgkmcnt(1)
	v_add_f32_e32 v8, v8, v19
	ds_bpermute_b32 v19, v17, v9
	v_cndmask_b32_e64 v9, -v9, v9, vcc
	s_waitcnt vmcnt(1)
	v_mul_f32_e32 v12, s6, v12
	s_waitcnt vmcnt(0)
	v_mul_f32_e32 v13, s6, v13
	v_cndmask_b32_e64 v7, -v7, v7, vcc
	s_waitcnt lgkmcnt(0)
	v_add_f32_e32 v9, v9, v19
	ds_bpermute_b32 v19, v17, v10
	v_cndmask_b32_e64 v10, -v10, v10, vcc
	v_add_f32_e32 v4, v7, v4
	v_xor_b32_e32 v7, 4, v3
	v_cmp_lt_i32_e64 s[0:1], v7, v16
	s_waitcnt lgkmcnt(0)
	v_add_f32_e32 v10, v10, v19
	ds_bpermute_b32 v19, v17, v11
	v_cndmask_b32_e64 v11, -v11, v11, vcc
	v_cndmask_b32_e64 v7, v3, v7, s[0:1]
	v_lshlrev_b32_e32 v7, 2, v7
	s_waitcnt lgkmcnt(0)
	v_add_f32_e32 v11, v11, v19
	ds_bpermute_b32 v19, v17, v12
	ds_bpermute_b32 v17, v17, v13
	v_cndmask_b32_e64 v12, -v12, v12, vcc
	v_cndmask_b32_e64 v13, -v13, v13, vcc
	v_cmp_eq_u32_e32 vcc, 0, v14
	ds_bpermute_b32 v14, v18, v4
	s_waitcnt lgkmcnt(1)
	v_add_f32_e32 v13, v13, v17
	ds_bpermute_b32 v17, v18, v5
	v_cndmask_b32_e64 v4, -v4, v4, vcc
	v_cndmask_b32_e64 v5, -v5, v5, vcc
	s_waitcnt lgkmcnt(1)
	v_add_f32_e32 v4, v4, v14
	ds_bpermute_b32 v14, v18, v10
	v_add_f32_e32 v12, v12, v19
	ds_bpermute_b32 v19, v18, v8
	s_waitcnt lgkmcnt(2)
	v_add_f32_e32 v5, v5, v17
	ds_bpermute_b32 v17, v18, v9
	v_cndmask_b32_e64 v10, -v10, v10, vcc
	s_waitcnt lgkmcnt(2)
	v_add_f32_e32 v10, v10, v14
	ds_bpermute_b32 v14, v7, v5
	v_cndmask_b32_e64 v8, -v8, v8, vcc
	v_cndmask_b32_e64 v9, -v9, v9, vcc
	s_waitcnt lgkmcnt(2)
	v_add_f32_e32 v8, v8, v19
	ds_bpermute_b32 v19, v18, v11
	v_cndmask_b32_e64 v11, -v11, v11, vcc
	s_waitcnt lgkmcnt(2)
	v_add_f32_e32 v9, v9, v17
	ds_bpermute_b32 v17, v18, v12
	v_cndmask_b32_e64 v12, -v12, v12, vcc
	ds_bpermute_b32 v18, v18, v13
	v_cndmask_b32_e64 v13, -v13, v13, vcc
	v_cmp_eq_u32_e32 vcc, 0, v15
	v_cndmask_b32_e64 v5, -v5, v5, vcc
	ds_bpermute_b32 v15, v7, v4
	s_waitcnt lgkmcnt(4)
	v_add_f32_e32 v5, v5, v14
	ds_bpermute_b32 v14, v7, v10
	s_waitcnt lgkmcnt(4)
	v_add_f32_e32 v11, v11, v19
	s_waitcnt lgkmcnt(3)
	v_add_f32_e32 v12, v12, v17
	s_waitcnt lgkmcnt(2)
	v_add_f32_e32 v13, v13, v18
	v_cndmask_b32_e64 v4, -v4, v4, vcc
	v_cndmask_b32_e64 v10, -v10, v10, vcc
	ds_bpermute_b32 v17, v7, v8
	ds_bpermute_b32 v18, v7, v9
	s_waitcnt lgkmcnt(3)
	v_add_f32_e32 v4, v4, v15
	ds_bpermute_b32 v15, v7, v11
	s_waitcnt lgkmcnt(3)
	v_add_f32_e32 v10, v10, v14
	ds_bpermute_b32 v14, v7, v12
	ds_bpermute_b32 v7, v7, v13
	v_cndmask_b32_e64 v13, -v13, v13, vcc
	v_cndmask_b32_e64 v8, -v8, v8, vcc
	;; [unrolled: 1-line block ×4, first 2 shown]
	s_waitcnt lgkmcnt(0)
	v_add_f32_e32 v7, v13, v7
	v_xor_b32_e32 v13, 8, v3
	v_cndmask_b32_e64 v12, -v12, v12, vcc
	v_cmp_lt_i32_e32 vcc, v13, v16
	v_cndmask_b32_e32 v13, v3, v13, vcc
	v_lshlrev_b32_e32 v13, 2, v13
	v_add_f32_e32 v12, v12, v14
	ds_bpermute_b32 v14, v13, v5
	v_add_f32_e32 v11, v11, v15
	v_and_b32_e32 v15, 8, v0
	v_cmp_eq_u32_e32 vcc, 0, v15
	v_add_f32_e32 v8, v8, v17
	v_cndmask_b32_e64 v5, -v5, v5, vcc
	s_waitcnt lgkmcnt(0)
	v_add_f32_e32 v5, v5, v14
	ds_bpermute_b32 v14, v13, v8
	v_add_f32_e32 v9, v9, v18
	v_cndmask_b32_e64 v8, -v8, v8, vcc
	ds_bpermute_b32 v15, v13, v9
	v_cndmask_b32_e64 v9, -v9, v9, vcc
	s_waitcnt lgkmcnt(1)
	v_add_f32_e32 v8, v8, v14
	ds_bpermute_b32 v14, v13, v10
	v_cndmask_b32_e64 v10, -v10, v10, vcc
	ds_bpermute_b32 v17, v13, v4
	s_waitcnt lgkmcnt(2)
	v_add_f32_e32 v9, v9, v15
	ds_bpermute_b32 v15, v13, v11
	s_waitcnt lgkmcnt(2)
	v_add_f32_e32 v10, v10, v14
	ds_bpermute_b32 v14, v13, v12
	ds_bpermute_b32 v13, v13, v7
	v_cndmask_b32_e64 v7, -v7, v7, vcc
	v_cndmask_b32_e64 v4, -v4, v4, vcc
	v_cndmask_b32_e64 v11, -v11, v11, vcc
	v_cndmask_b32_e64 v12, -v12, v12, vcc
	s_waitcnt lgkmcnt(0)
	v_add_f32_e32 v7, v7, v13
	v_xor_b32_e32 v13, 16, v3
	v_cmp_lt_i32_e32 vcc, v13, v16
	v_cndmask_b32_e32 v13, v3, v13, vcc
	v_lshlrev_b32_e32 v13, 2, v13
	v_add_f32_e32 v12, v12, v14
	ds_bpermute_b32 v14, v13, v5
	v_add_f32_e32 v11, v11, v15
	v_and_b32_e32 v15, 16, v0
	v_cmp_eq_u32_e32 vcc, 0, v15
	v_cndmask_b32_e64 v5, -v5, v5, vcc
	s_waitcnt lgkmcnt(0)
	v_add_f32_e32 v5, v5, v14
	ds_bpermute_b32 v14, v13, v8
	v_cndmask_b32_e64 v8, -v8, v8, vcc
	ds_bpermute_b32 v15, v13, v9
	v_add_f32_e32 v4, v4, v17
	v_cndmask_b32_e64 v9, -v9, v9, vcc
	s_waitcnt lgkmcnt(1)
	v_add_f32_e32 v8, v8, v14
	ds_bpermute_b32 v14, v13, v10
	v_cndmask_b32_e64 v10, -v10, v10, vcc
	ds_bpermute_b32 v17, v13, v4
	s_waitcnt lgkmcnt(2)
	v_add_f32_e32 v9, v9, v15
	ds_bpermute_b32 v15, v13, v11
	s_waitcnt lgkmcnt(2)
	v_add_f32_e32 v10, v10, v14
	ds_bpermute_b32 v14, v13, v12
	ds_bpermute_b32 v13, v13, v7
	v_cndmask_b32_e64 v7, -v7, v7, vcc
	v_cndmask_b32_e64 v4, -v4, v4, vcc
	;; [unrolled: 1-line block ×4, first 2 shown]
	s_waitcnt lgkmcnt(0)
	v_add_f32_e32 v7, v7, v13
	v_xor_b32_e32 v13, 32, v3
	v_cmp_lt_i32_e32 vcc, v13, v16
	v_cndmask_b32_e32 v3, v3, v13, vcc
	v_and_b32_e32 v0, 32, v0
	v_lshlrev_b32_e32 v3, 2, v3
	v_cmp_eq_u32_e32 vcc, 0, v0
	ds_bpermute_b32 v13, v3, v5
	v_cndmask_b32_e64 v0, -v5, v5, vcc
	ds_bpermute_b32 v5, v3, v8
	v_cndmask_b32_e64 v8, -v8, v8, vcc
	v_add_f32_e32 v4, v4, v17
	s_waitcnt lgkmcnt(1)
	v_add_f32_e32 v0, v0, v13
	ds_bpermute_b32 v13, v3, v9
	s_waitcnt lgkmcnt(1)
	v_add_f32_e32 v5, v8, v5
	ds_bpermute_b32 v8, v3, v10
	v_add_f32_e32 v11, v11, v15
	v_add_f32_e32 v12, v12, v14
	v_cndmask_b32_e64 v9, -v9, v9, vcc
	v_cndmask_b32_e64 v10, -v10, v10, vcc
	ds_bpermute_b32 v14, v3, v4
	s_waitcnt lgkmcnt(2)
	v_add_f32_e32 v9, v9, v13
	ds_bpermute_b32 v13, v3, v11
	s_waitcnt lgkmcnt(2)
	v_add_f32_e32 v8, v10, v8
	ds_bpermute_b32 v10, v3, v12
	ds_bpermute_b32 v3, v3, v7
	v_cndmask_b32_e64 v4, -v4, v4, vcc
	v_cndmask_b32_e64 v11, -v11, v11, vcc
	;; [unrolled: 1-line block ×4, first 2 shown]
	s_waitcnt lgkmcnt(3)
	v_add_f32_e32 v4, v4, v14
	s_waitcnt lgkmcnt(2)
	v_add_f32_e32 v11, v11, v13
	;; [unrolled: 2-line block ×4, first 2 shown]
	v_add_f32_e32 v7, v0, v4
	v_sub_f32_e32 v0, v0, v4
	v_add_f32_e32 v4, v5, v9
	v_sub_f32_e32 v5, v5, v9
	;; [unrolled: 2-line block ×4, first 2 shown]
	v_sub_f32_e32 v10, v7, v4
	v_add_f32_e32 v4, v7, v4
	v_add_f32_e32 v7, v0, v5
	v_sub_f32_e32 v0, v0, v5
	v_sub_f32_e32 v5, v9, v11
	v_add_f32_e32 v9, v9, v11
	v_add_f32_e32 v11, v8, v3
	v_sub_f32_e32 v3, v8, v3
	v_add_f32_e32 v12, v4, v9
	v_sub_f32_e32 v4, v4, v9
	;; [unrolled: 2-line block ×3, first 2 shown]
	v_mov_b32_e32 v0, s3
	v_add_co_u32_e32 v1, vcc, s2, v1
	v_addc_co_u32_e32 v2, vcc, v0, v2, vcc
	v_add_co_u32_e32 v0, vcc, v1, v6
	v_addc_co_u32_e32 v1, vcc, 0, v2, vcc
	v_sub_f32_e32 v8, v10, v5
	v_add_f32_e32 v13, v7, v11
	v_add_f32_e32 v5, v10, v5
	v_sub_f32_e32 v7, v7, v11
	global_store_dword v[0:1], v12, off
	global_store_dword v[0:1], v13, off offset:256
	global_store_dword v[0:1], v5, off offset:512
	;; [unrolled: 1-line block ×7, first 2 shown]
.LBB3_2:
	s_endpgm
	.section	.rodata,"a",@progbits
	.p2align	6, 0x0
	.amdhsa_kernel _Z9fwht_cudaILi512EEvPKfPflf
		.amdhsa_group_segment_fixed_size 0
		.amdhsa_private_segment_fixed_size 0
		.amdhsa_kernarg_size 288
		.amdhsa_user_sgpr_count 6
		.amdhsa_user_sgpr_private_segment_buffer 1
		.amdhsa_user_sgpr_dispatch_ptr 0
		.amdhsa_user_sgpr_queue_ptr 0
		.amdhsa_user_sgpr_kernarg_segment_ptr 1
		.amdhsa_user_sgpr_dispatch_id 0
		.amdhsa_user_sgpr_flat_scratch_init 0
		.amdhsa_user_sgpr_private_segment_size 0
		.amdhsa_uses_dynamic_stack 0
		.amdhsa_system_sgpr_private_segment_wavefront_offset 0
		.amdhsa_system_sgpr_workgroup_id_x 1
		.amdhsa_system_sgpr_workgroup_id_y 0
		.amdhsa_system_sgpr_workgroup_id_z 0
		.amdhsa_system_sgpr_workgroup_info 0
		.amdhsa_system_vgpr_workitem_id 1
		.amdhsa_next_free_vgpr 20
		.amdhsa_next_free_sgpr 7
		.amdhsa_reserve_vcc 1
		.amdhsa_reserve_flat_scratch 0
		.amdhsa_float_round_mode_32 0
		.amdhsa_float_round_mode_16_64 0
		.amdhsa_float_denorm_mode_32 3
		.amdhsa_float_denorm_mode_16_64 3
		.amdhsa_dx10_clamp 1
		.amdhsa_ieee_mode 1
		.amdhsa_fp16_overflow 0
		.amdhsa_exception_fp_ieee_invalid_op 0
		.amdhsa_exception_fp_denorm_src 0
		.amdhsa_exception_fp_ieee_div_zero 0
		.amdhsa_exception_fp_ieee_overflow 0
		.amdhsa_exception_fp_ieee_underflow 0
		.amdhsa_exception_fp_ieee_inexact 0
		.amdhsa_exception_int_div_zero 0
	.end_amdhsa_kernel
	.section	.text._Z9fwht_cudaILi512EEvPKfPflf,"axG",@progbits,_Z9fwht_cudaILi512EEvPKfPflf,comdat
.Lfunc_end3:
	.size	_Z9fwht_cudaILi512EEvPKfPflf, .Lfunc_end3-_Z9fwht_cudaILi512EEvPKfPflf
                                        ; -- End function
	.set _Z9fwht_cudaILi512EEvPKfPflf.num_vgpr, 20
	.set _Z9fwht_cudaILi512EEvPKfPflf.num_agpr, 0
	.set _Z9fwht_cudaILi512EEvPKfPflf.numbered_sgpr, 7
	.set _Z9fwht_cudaILi512EEvPKfPflf.num_named_barrier, 0
	.set _Z9fwht_cudaILi512EEvPKfPflf.private_seg_size, 0
	.set _Z9fwht_cudaILi512EEvPKfPflf.uses_vcc, 1
	.set _Z9fwht_cudaILi512EEvPKfPflf.uses_flat_scratch, 0
	.set _Z9fwht_cudaILi512EEvPKfPflf.has_dyn_sized_stack, 0
	.set _Z9fwht_cudaILi512EEvPKfPflf.has_recursion, 0
	.set _Z9fwht_cudaILi512EEvPKfPflf.has_indirect_call, 0
	.section	.AMDGPU.csdata,"",@progbits
; Kernel info:
; codeLenInByte = 1700
; TotalNumSgprs: 11
; NumVgprs: 20
; ScratchSize: 0
; MemoryBound: 0
; FloatMode: 240
; IeeeMode: 1
; LDSByteSize: 0 bytes/workgroup (compile time only)
; SGPRBlocks: 1
; VGPRBlocks: 4
; NumSGPRsForWavesPerEU: 11
; NumVGPRsForWavesPerEU: 20
; Occupancy: 10
; WaveLimiterHint : 1
; COMPUTE_PGM_RSRC2:SCRATCH_EN: 0
; COMPUTE_PGM_RSRC2:USER_SGPR: 6
; COMPUTE_PGM_RSRC2:TRAP_HANDLER: 0
; COMPUTE_PGM_RSRC2:TGID_X_EN: 1
; COMPUTE_PGM_RSRC2:TGID_Y_EN: 0
; COMPUTE_PGM_RSRC2:TGID_Z_EN: 0
; COMPUTE_PGM_RSRC2:TIDIG_COMP_CNT: 1
	.section	.AMDGPU.gpr_maximums,"",@progbits
	.set amdgpu.max_num_vgpr, 0
	.set amdgpu.max_num_agpr, 0
	.set amdgpu.max_num_sgpr, 0
	.section	.AMDGPU.csdata,"",@progbits
	.type	__hip_cuid_385261f11c8d38bb,@object ; @__hip_cuid_385261f11c8d38bb
	.section	.bss,"aw",@nobits
	.globl	__hip_cuid_385261f11c8d38bb
__hip_cuid_385261f11c8d38bb:
	.byte	0                               ; 0x0
	.size	__hip_cuid_385261f11c8d38bb, 1

	.ident	"AMD clang version 22.0.0git (https://github.com/RadeonOpenCompute/llvm-project roc-7.2.4 26084 f58b06dce1f9c15707c5f808fd002e18c2accf7e)"
	.section	".note.GNU-stack","",@progbits
	.addrsig
	.addrsig_sym __hip_cuid_385261f11c8d38bb
	.amdgpu_metadata
---
amdhsa.kernels:
  - .args:
      - .address_space:  global
        .offset:         0
        .size:           8
        .value_kind:     global_buffer
      - .address_space:  global
        .offset:         8
        .size:           8
        .value_kind:     global_buffer
      - .offset:         16
        .size:           8
        .value_kind:     by_value
      - .offset:         24
        .size:           4
        .value_kind:     by_value
      - .offset:         32
        .size:           4
        .value_kind:     hidden_block_count_x
      - .offset:         36
        .size:           4
        .value_kind:     hidden_block_count_y
      - .offset:         40
        .size:           4
        .value_kind:     hidden_block_count_z
      - .offset:         44
        .size:           2
        .value_kind:     hidden_group_size_x
      - .offset:         46
        .size:           2
        .value_kind:     hidden_group_size_y
      - .offset:         48
        .size:           2
        .value_kind:     hidden_group_size_z
      - .offset:         50
        .size:           2
        .value_kind:     hidden_remainder_x
      - .offset:         52
        .size:           2
        .value_kind:     hidden_remainder_y
      - .offset:         54
        .size:           2
        .value_kind:     hidden_remainder_z
      - .offset:         72
        .size:           8
        .value_kind:     hidden_global_offset_x
      - .offset:         80
        .size:           8
        .value_kind:     hidden_global_offset_y
      - .offset:         88
        .size:           8
        .value_kind:     hidden_global_offset_z
      - .offset:         96
        .size:           2
        .value_kind:     hidden_grid_dims
    .group_segment_fixed_size: 0
    .kernarg_segment_align: 8
    .kernarg_segment_size: 288
    .language:       OpenCL C
    .language_version:
      - 2
      - 0
    .max_flat_workgroup_size: 256
    .name:           _Z9fwht_cudaILi64EEvPKfPflf
    .private_segment_fixed_size: 0
    .sgpr_count:     11
    .sgpr_spill_count: 0
    .symbol:         _Z9fwht_cudaILi64EEvPKfPflf.kd
    .uniform_work_group_size: 1
    .uses_dynamic_stack: false
    .vgpr_count:     18
    .vgpr_spill_count: 0
    .wavefront_size: 64
  - .args:
      - .address_space:  global
        .offset:         0
        .size:           8
        .value_kind:     global_buffer
      - .address_space:  global
        .offset:         8
        .size:           8
        .value_kind:     global_buffer
      - .offset:         16
        .size:           8
        .value_kind:     by_value
      - .offset:         24
        .size:           4
        .value_kind:     by_value
      - .offset:         32
        .size:           4
        .value_kind:     hidden_block_count_x
      - .offset:         36
        .size:           4
        .value_kind:     hidden_block_count_y
      - .offset:         40
        .size:           4
        .value_kind:     hidden_block_count_z
      - .offset:         44
        .size:           2
        .value_kind:     hidden_group_size_x
      - .offset:         46
        .size:           2
        .value_kind:     hidden_group_size_y
      - .offset:         48
        .size:           2
        .value_kind:     hidden_group_size_z
      - .offset:         50
        .size:           2
        .value_kind:     hidden_remainder_x
      - .offset:         52
        .size:           2
        .value_kind:     hidden_remainder_y
      - .offset:         54
        .size:           2
        .value_kind:     hidden_remainder_z
      - .offset:         72
        .size:           8
        .value_kind:     hidden_global_offset_x
      - .offset:         80
        .size:           8
        .value_kind:     hidden_global_offset_y
      - .offset:         88
        .size:           8
        .value_kind:     hidden_global_offset_z
      - .offset:         96
        .size:           2
        .value_kind:     hidden_grid_dims
    .group_segment_fixed_size: 0
    .kernarg_segment_align: 8
    .kernarg_segment_size: 288
    .language:       OpenCL C
    .language_version:
      - 2
      - 0
    .max_flat_workgroup_size: 256
    .name:           _Z9fwht_cudaILi128EEvPKfPflf
    .private_segment_fixed_size: 0
    .sgpr_count:     11
    .sgpr_spill_count: 0
    .symbol:         _Z9fwht_cudaILi128EEvPKfPflf.kd
    .uniform_work_group_size: 1
    .uses_dynamic_stack: false
    .vgpr_count:     19
    .vgpr_spill_count: 0
    .wavefront_size: 64
  - .args:
      - .address_space:  global
        .offset:         0
        .size:           8
        .value_kind:     global_buffer
      - .address_space:  global
        .offset:         8
        .size:           8
        .value_kind:     global_buffer
      - .offset:         16
        .size:           8
        .value_kind:     by_value
      - .offset:         24
        .size:           4
        .value_kind:     by_value
      - .offset:         32
        .size:           4
        .value_kind:     hidden_block_count_x
      - .offset:         36
        .size:           4
        .value_kind:     hidden_block_count_y
      - .offset:         40
        .size:           4
        .value_kind:     hidden_block_count_z
      - .offset:         44
        .size:           2
        .value_kind:     hidden_group_size_x
      - .offset:         46
        .size:           2
        .value_kind:     hidden_group_size_y
      - .offset:         48
        .size:           2
        .value_kind:     hidden_group_size_z
      - .offset:         50
        .size:           2
        .value_kind:     hidden_remainder_x
      - .offset:         52
        .size:           2
        .value_kind:     hidden_remainder_y
      - .offset:         54
        .size:           2
        .value_kind:     hidden_remainder_z
      - .offset:         72
        .size:           8
        .value_kind:     hidden_global_offset_x
      - .offset:         80
        .size:           8
        .value_kind:     hidden_global_offset_y
      - .offset:         88
        .size:           8
        .value_kind:     hidden_global_offset_z
      - .offset:         96
        .size:           2
        .value_kind:     hidden_grid_dims
    .group_segment_fixed_size: 0
    .kernarg_segment_align: 8
    .kernarg_segment_size: 288
    .language:       OpenCL C
    .language_version:
      - 2
      - 0
    .max_flat_workgroup_size: 256
    .name:           _Z9fwht_cudaILi256EEvPKfPflf
    .private_segment_fixed_size: 0
    .sgpr_count:     17
    .sgpr_spill_count: 0
    .symbol:         _Z9fwht_cudaILi256EEvPKfPflf.kd
    .uniform_work_group_size: 1
    .uses_dynamic_stack: false
    .vgpr_count:     20
    .vgpr_spill_count: 0
    .wavefront_size: 64
  - .args:
      - .address_space:  global
        .offset:         0
        .size:           8
        .value_kind:     global_buffer
      - .address_space:  global
        .offset:         8
        .size:           8
        .value_kind:     global_buffer
      - .offset:         16
        .size:           8
        .value_kind:     by_value
      - .offset:         24
        .size:           4
        .value_kind:     by_value
      - .offset:         32
        .size:           4
        .value_kind:     hidden_block_count_x
      - .offset:         36
        .size:           4
        .value_kind:     hidden_block_count_y
      - .offset:         40
        .size:           4
        .value_kind:     hidden_block_count_z
      - .offset:         44
        .size:           2
        .value_kind:     hidden_group_size_x
      - .offset:         46
        .size:           2
        .value_kind:     hidden_group_size_y
      - .offset:         48
        .size:           2
        .value_kind:     hidden_group_size_z
      - .offset:         50
        .size:           2
        .value_kind:     hidden_remainder_x
      - .offset:         52
        .size:           2
        .value_kind:     hidden_remainder_y
      - .offset:         54
        .size:           2
        .value_kind:     hidden_remainder_z
      - .offset:         72
        .size:           8
        .value_kind:     hidden_global_offset_x
      - .offset:         80
        .size:           8
        .value_kind:     hidden_global_offset_y
      - .offset:         88
        .size:           8
        .value_kind:     hidden_global_offset_z
      - .offset:         96
        .size:           2
        .value_kind:     hidden_grid_dims
    .group_segment_fixed_size: 0
    .kernarg_segment_align: 8
    .kernarg_segment_size: 288
    .language:       OpenCL C
    .language_version:
      - 2
      - 0
    .max_flat_workgroup_size: 256
    .name:           _Z9fwht_cudaILi512EEvPKfPflf
    .private_segment_fixed_size: 0
    .sgpr_count:     11
    .sgpr_spill_count: 0
    .symbol:         _Z9fwht_cudaILi512EEvPKfPflf.kd
    .uniform_work_group_size: 1
    .uses_dynamic_stack: false
    .vgpr_count:     20
    .vgpr_spill_count: 0
    .wavefront_size: 64
amdhsa.target:   amdgcn-amd-amdhsa--gfx906
amdhsa.version:
  - 1
  - 2
...

	.end_amdgpu_metadata
